;; amdgpu-corpus repo=ROCm/MIOpen kind=compiled arch=gfx1100 opt=O3
	.text
	.amdgcn_target "amdgcn-amd-amdhsa--gfx1100"
	.amdhsa_code_object_version 6
	.protected	KthvalueFwd             ; -- Begin function KthvalueFwd
	.globl	KthvalueFwd
	.p2align	8
	.type	KthvalueFwd,@function
KthvalueFwd:                            ; @KthvalueFwd
; %bb.0:
	s_load_b128 s[4:7], s[0:1], 0x30
	s_mov_b32 s68, s15
	s_mov_b32 s69, 0
	s_waitcnt lgkmcnt(0)
	v_cmp_ge_u64_e64 s2, s[68:69], s[4:5]
	s_delay_alu instid0(VALU_DEP_1)
	s_and_b32 vcc_lo, exec_lo, s2
	s_cbranch_vccnz .LBB0_69
; %bb.1:
	s_clause 0x3
	s_load_b64 s[2:3], s[0:1], 0x70
	s_load_b256 s[36:43], s[0:1], 0x0
	s_load_b128 s[28:31], s[0:1], 0x20
	s_load_b128 s[60:63], s[0:1], 0x60
	s_mov_b64 s[64:65], 0
	s_mov_b64 s[66:67], 0
	s_waitcnt lgkmcnt(0)
	v_cmp_lt_u64_e64 s4, s[68:69], s[2:3]
	s_delay_alu instid0(VALU_DEP_1)
	s_and_b32 vcc_lo, exec_lo, s4
	s_cbranch_vccnz .LBB0_3
; %bb.2:
	v_cvt_f32_u32_e32 v1, s2
	s_sub_i32 s5, 0, s2
	s_mov_b32 s67, 0
	s_delay_alu instid0(VALU_DEP_1) | instskip(SKIP_2) | instid1(VALU_DEP_1)
	v_rcp_iflag_f32_e32 v1, v1
	s_waitcnt_depctr 0xfff
	v_mul_f32_e32 v1, 0x4f7ffffe, v1
	v_cvt_u32_f32_e32 v1, v1
	s_delay_alu instid0(VALU_DEP_1) | instskip(NEXT) | instid1(VALU_DEP_1)
	v_readfirstlane_b32 s4, v1
	s_mul_i32 s5, s5, s4
	s_delay_alu instid0(SALU_CYCLE_1) | instskip(NEXT) | instid1(SALU_CYCLE_1)
	s_mul_hi_u32 s5, s4, s5
	s_add_i32 s4, s4, s5
	s_delay_alu instid0(SALU_CYCLE_1) | instskip(NEXT) | instid1(SALU_CYCLE_1)
	s_mul_hi_u32 s4, s68, s4
	s_mul_i32 s5, s4, s2
	s_add_i32 s6, s4, 1
	s_sub_i32 s5, s68, s5
	s_delay_alu instid0(SALU_CYCLE_1)
	s_sub_i32 s7, s5, s2
	s_cmp_ge_u32 s5, s2
	s_cselect_b32 s4, s6, s4
	s_cselect_b32 s5, s7, s5
	s_add_i32 s6, s4, 1
	s_cmp_ge_u32 s5, s2
	s_cselect_b32 s66, s6, s4
.LBB0_3:
	s_clause 0x1
	s_load_b64 s[70:71], s[0:1], 0x98
	s_load_b256 s[44:51], s[0:1], 0x78
	v_cmp_lt_u64_e64 s4, s[66:67], s[62:63]
	s_delay_alu instid0(VALU_DEP_1)
	s_and_b32 vcc_lo, exec_lo, s4
	s_cbranch_vccnz .LBB0_5
; %bb.4:
	v_cvt_f32_u32_e32 v1, s62
	s_sub_i32 s5, 0, s62
	s_mov_b32 s65, 0
	s_delay_alu instid0(VALU_DEP_1) | instskip(SKIP_2) | instid1(VALU_DEP_1)
	v_rcp_iflag_f32_e32 v1, v1
	s_waitcnt_depctr 0xfff
	v_mul_f32_e32 v1, 0x4f7ffffe, v1
	v_cvt_u32_f32_e32 v1, v1
	s_delay_alu instid0(VALU_DEP_1) | instskip(NEXT) | instid1(VALU_DEP_1)
	v_readfirstlane_b32 s4, v1
	s_mul_i32 s5, s5, s4
	s_delay_alu instid0(SALU_CYCLE_1) | instskip(NEXT) | instid1(SALU_CYCLE_1)
	s_mul_hi_u32 s5, s4, s5
	s_add_i32 s4, s4, s5
	s_delay_alu instid0(SALU_CYCLE_1) | instskip(NEXT) | instid1(SALU_CYCLE_1)
	s_mul_hi_u32 s4, s66, s4
	s_mul_i32 s5, s4, s62
	s_add_i32 s6, s4, 1
	s_sub_i32 s5, s66, s5
	s_delay_alu instid0(SALU_CYCLE_1)
	s_sub_i32 s7, s5, s62
	s_cmp_ge_u32 s5, s62
	s_cselect_b32 s4, s6, s4
	s_cselect_b32 s5, s7, s5
	s_add_i32 s6, s4, 1
	s_cmp_ge_u32 s5, s62
	s_cselect_b32 s64, s6, s4
.LBB0_5:
	s_clause 0x1
	s_load_b64 s[34:35], s[0:1], 0xe8
	s_load_b256 s[4:11], s[0:1], 0x38
	v_cmp_lt_u64_e64 s12, s[64:65], s[60:61]
	s_mov_b64 s[72:73], 0
	s_delay_alu instid0(VALU_DEP_1)
	s_and_b32 vcc_lo, exec_lo, s12
	s_cbranch_vccnz .LBB0_7
; %bb.6:
	v_cvt_f32_u32_e32 v1, s60
	s_sub_i32 s13, 0, s60
	s_delay_alu instid0(VALU_DEP_1) | instskip(SKIP_2) | instid1(VALU_DEP_1)
	v_rcp_iflag_f32_e32 v1, v1
	s_waitcnt_depctr 0xfff
	v_mul_f32_e32 v1, 0x4f7ffffe, v1
	v_cvt_u32_f32_e32 v1, v1
	s_delay_alu instid0(VALU_DEP_1) | instskip(NEXT) | instid1(VALU_DEP_1)
	v_readfirstlane_b32 s12, v1
	s_mul_i32 s13, s13, s12
	s_delay_alu instid0(SALU_CYCLE_1) | instskip(NEXT) | instid1(SALU_CYCLE_1)
	s_mul_hi_u32 s13, s12, s13
	s_add_i32 s12, s12, s13
	s_delay_alu instid0(SALU_CYCLE_1) | instskip(NEXT) | instid1(SALU_CYCLE_1)
	s_mul_hi_u32 s12, s64, s12
	s_mul_i32 s13, s12, s60
	s_add_i32 s14, s12, 1
	s_sub_i32 s13, s64, s13
	s_delay_alu instid0(SALU_CYCLE_1)
	s_sub_i32 s15, s13, s60
	s_cmp_ge_u32 s13, s60
	s_cselect_b32 s12, s14, s12
	s_cselect_b32 s13, s15, s13
	s_add_i32 s14, s12, 1
	s_cmp_ge_u32 s13, s60
	s_cselect_b32 s72, s14, s12
.LBB0_7:
	s_clause 0x1
	s_load_b512 s[12:27], s[0:1], 0xa8
	s_load_b256 s[52:59], s[0:1], 0xf8
	s_mul_i32 s0, s64, s63
	s_mul_hi_u32 s1, s64, s62
	s_mul_i32 s33, s64, s62
	s_add_i32 s1, s1, s0
	s_sub_u32 s0, s66, s33
	s_subb_u32 s33, s67, s1
	s_mul_i32 s1, s66, s3
	s_mul_hi_u32 s3, s66, s2
	s_mul_i32 s2, s66, s2
	s_add_i32 s3, s3, s1
	s_sub_u32 s2, s68, s2
	s_subb_u32 s62, 0, s3
	;; [unrolled: 6-line block ×3, first 2 shown]
	s_waitcnt lgkmcnt(0)
	s_mul_i32 s1, s72, s5
	s_mul_hi_u32 s5, s72, s4
	s_mul_i32 s7, s60, s7
	s_mul_hi_u32 s61, s60, s6
	s_add_i32 s1, s5, s1
	s_add_i32 s5, s61, s7
	s_mul_i32 s3, s3, s6
	s_mul_i32 s7, s0, s9
	s_mul_hi_u32 s9, s0, s8
	s_add_i32 s3, s5, s3
	s_add_i32 s5, s9, s7
	s_mul_i32 s33, s33, s8
	s_mul_i32 s7, s2, s11
	s_mul_hi_u32 s11, s2, s10
	s_add_i32 s9, s5, s33
	s_mul_i32 s8, s0, s8
	s_add_i32 s5, s11, s7
	s_mul_i32 s62, s62, s10
	s_lshl_b64 s[8:9], s[8:9], 2
	s_add_i32 s11, s5, s62
	s_mul_i32 s10, s2, s10
	s_add_u32 s0, s36, s8
	s_addc_u32 s5, s37, s9
	s_lshl_b64 s[8:9], s[10:11], 2
	s_mul_i32 s2, s60, s6
	s_add_u32 s6, s0, s8
	v_dual_mov_b32 v1, 0 :: v_dual_lshlrev_b32 v20, 5, v0
	s_addc_u32 s5, s5, s9
	s_lshl_b64 s[2:3], s[2:3], 2
	s_mul_i32 s0, s72, s4
	s_add_u32 s4, s6, s2
	s_addc_u32 s5, s5, s3
	s_lshl_b64 s[2:3], s[0:1], 2
	v_cmp_gt_u64_e64 s0, s[28:29], v[0:1]
	s_add_u32 s33, s4, s2
	v_dual_mov_b32 v11, v1 :: v_dual_mov_b32 v10, v0
	s_addc_u32 s36, s5, s3
	v_cmp_gt_u32_e64 s1, 0x80, v0
	v_cmp_gt_u32_e64 s2, 64, v0
	;; [unrolled: 1-line block ×7, first 2 shown]
	v_cmp_eq_u32_e64 s4, 0, v0
	v_dual_mov_b32 v12, s42 :: v_dual_mov_b32 v13, s43
	s_mov_b32 s42, 0
	s_mov_b32 s37, 30
	;; [unrolled: 1-line block ×3, first 2 shown]
                                        ; implicit-def: $vgpr14_vgpr15
                                        ; implicit-def: $vgpr16_vgpr17
	s_branch .LBB0_9
.LBB0_8:                                ;   in Loop: Header=BB0_9 Depth=1
	s_add_i32 s10, s37, -2
	s_cmp_eq_u32 s37, 0
	s_mov_b32 s42, s9
	s_cselect_b32 s11, -1, 0
	s_mov_b32 s43, s61
	s_or_b32 s11, s62, s11
	s_mov_b32 s37, s10
	s_and_not1_b32 vcc_lo, exec_lo, s11
	s_cbranch_vccz .LBB0_51
.LBB0_9:                                ; =>This Loop Header: Depth=1
                                        ;     Child Loop BB0_12 Depth 2
                                        ;     Child Loop BB0_45 Depth 2
	v_mov_b32_e32 v2, 0
	v_mov_b32_e32 v3, 0
	s_delay_alu instid0(VALU_DEP_1)
	v_dual_mov_b32 v5, v3 :: v_dual_mov_b32 v4, v2
	v_dual_mov_b32 v7, v3 :: v_dual_mov_b32 v6, v2
	;; [unrolled: 1-line block ×3, first 2 shown]
	s_and_saveexec_b32 s72, s0
	s_cbranch_execz .LBB0_15
; %bb.10:                               ;   in Loop: Header=BB0_9 Depth=1
	s_mov_b32 s60, 0
	v_dual_mov_b32 v19, v11 :: v_dual_mov_b32 v18, v10
	s_mov_b32 s61, s60
	s_mov_b32 s62, s60
	s_mov_b32 s63, s60
	s_mov_b32 s64, s60
	s_mov_b32 s65, s60
	s_mov_b32 s66, s60
	s_mov_b32 s67, s60
	v_dual_mov_b32 v2, s60 :: v_dual_mov_b32 v3, s61
	v_dual_mov_b32 v4, s62 :: v_dual_mov_b32 v5, s63
	;; [unrolled: 1-line block ×4, first 2 shown]
	s_branch .LBB0_12
.LBB0_11:                               ;   in Loop: Header=BB0_12 Depth=2
	s_or_b32 exec_lo, exec_lo, s61
	v_add_co_u32 v18, vcc_lo, 0x100, v18
	v_add_co_ci_u32_e32 v19, vcc_lo, 0, v19, vcc_lo
	s_delay_alu instid0(VALU_DEP_1) | instskip(SKIP_1) | instid1(SALU_CYCLE_1)
	v_cmp_le_u64_e32 vcc_lo, s[28:29], v[18:19]
	s_or_b32 s60, vcc_lo, s60
	s_and_not1_b32 exec_lo, exec_lo, s60
	s_cbranch_execz .LBB0_14
.LBB0_12:                               ;   Parent Loop BB0_9 Depth=1
                                        ; =>  This Inner Loop Header: Depth=2
	v_mul_lo_u32 v0, v19, s30
	v_mul_lo_u32 v23, v18, s31
	v_mad_u64_u32 v[21:22], null, v18, s30, 0
	s_mov_b32 s61, exec_lo
	s_delay_alu instid0(VALU_DEP_1) | instskip(NEXT) | instid1(VALU_DEP_1)
	v_add3_u32 v22, v22, v23, v0
	v_lshlrev_b64 v[21:22], 2, v[21:22]
	s_delay_alu instid0(VALU_DEP_1) | instskip(NEXT) | instid1(VALU_DEP_2)
	v_add_co_u32 v21, vcc_lo, s33, v21
	v_add_co_ci_u32_e32 v22, vcc_lo, s36, v22, vcc_lo
	global_load_b32 v0, v[21:22], off
	s_waitcnt vmcnt(0)
	v_cmp_lt_i32_e32 vcc_lo, -1, v0
	v_cndmask_b32_e64 v21, -1, 0x80000000, vcc_lo
	v_cmp_o_f32_e32 vcc_lo, v0, v0
	s_delay_alu instid0(VALU_DEP_2) | instskip(NEXT) | instid1(VALU_DEP_1)
	v_xor_b32_e32 v21, v21, v0
	v_cndmask_b32_e32 v0, -1, v21, vcc_lo
	s_delay_alu instid0(VALU_DEP_1) | instskip(NEXT) | instid1(VALU_DEP_1)
	v_and_b32_e32 v21, s42, v0
	v_cmpx_eq_u32_e64 s43, v21
	s_cbranch_execz .LBB0_11
; %bb.13:                               ;   in Loop: Header=BB0_12 Depth=2
	v_bfe_u32 v0, v0, s37, 2
	s_delay_alu instid0(VALU_DEP_1) | instskip(SKIP_3) | instid1(VALU_DEP_1)
	v_cmp_eq_u32_e32 vcc_lo, 1, v0
	v_cmp_eq_u32_e64 s9, 2, v0
	v_cmp_eq_u32_e64 s10, 3, v0
	v_dual_cndmask_b32 v21, v3, v5 :: v_dual_cndmask_b32 v22, v2, v4
	v_cndmask_b32_e64 v21, v21, v7, s9
	s_delay_alu instid0(VALU_DEP_2) | instskip(NEXT) | instid1(VALU_DEP_2)
	v_cndmask_b32_e64 v22, v22, v6, s9
	v_cndmask_b32_e64 v21, v21, v9, s10
	s_delay_alu instid0(VALU_DEP_2) | instskip(NEXT) | instid1(VALU_DEP_1)
	v_cndmask_b32_e64 v22, v22, v8, s10
	v_add_co_u32 v22, s11, v22, 1
	s_delay_alu instid0(VALU_DEP_1) | instskip(NEXT) | instid1(VALU_DEP_2)
	v_add_co_ci_u32_e64 v21, s11, 0, v21, s11
	v_cndmask_b32_e64 v8, v8, v22, s10
	v_cndmask_b32_e64 v6, v6, v22, s9
	s_delay_alu instid0(VALU_DEP_3) | instskip(SKIP_3) | instid1(VALU_DEP_3)
	v_cndmask_b32_e64 v9, v9, v21, s10
	v_cmp_eq_u32_e64 s10, 0, v0
	v_cndmask_b32_e64 v7, v7, v21, s9
	v_dual_cndmask_b32 v5, v5, v21 :: v_dual_cndmask_b32 v4, v4, v22
	v_cndmask_b32_e64 v3, v3, v21, s10
	v_cndmask_b32_e64 v2, v2, v22, s10
	s_branch .LBB0_11
.LBB0_14:                               ;   in Loop: Header=BB0_9 Depth=1
	s_or_b32 exec_lo, exec_lo, s60
.LBB0_15:                               ;   in Loop: Header=BB0_9 Depth=1
	s_delay_alu instid0(SALU_CYCLE_1)
	s_or_b32 exec_lo, exec_lo, s72
	ds_store_b128 v20, v[2:5]
	ds_store_b128 v20, v[6:9] offset:16
	s_waitcnt lgkmcnt(0)
	s_barrier
	buffer_gl0_inv
	s_and_saveexec_b32 s9, s1
	s_cbranch_execz .LBB0_17
; %bb.16:                               ;   in Loop: Header=BB0_9 Depth=1
	ds_load_b128 v[2:5], v20 offset:4096
	ds_load_b128 v[6:9], v20
	ds_load_b128 v[21:24], v20 offset:16
	ds_load_b128 v[25:28], v20 offset:4112
	s_waitcnt lgkmcnt(2)
	v_add_co_u32 v2, vcc_lo, v6, v2
	v_add_co_ci_u32_e32 v3, vcc_lo, v7, v3, vcc_lo
	v_add_co_u32 v4, vcc_lo, v8, v4
	v_add_co_ci_u32_e32 v5, vcc_lo, v9, v5, vcc_lo
	s_waitcnt lgkmcnt(0)
	v_add_co_u32 v6, vcc_lo, v21, v25
	v_add_co_ci_u32_e32 v7, vcc_lo, v22, v26, vcc_lo
	v_add_co_u32 v8, vcc_lo, v23, v27
	v_add_co_ci_u32_e32 v9, vcc_lo, v24, v28, vcc_lo
	ds_store_b128 v20, v[2:5]
	ds_store_b128 v20, v[6:9] offset:16
.LBB0_17:                               ;   in Loop: Header=BB0_9 Depth=1
	s_or_b32 exec_lo, exec_lo, s9
	s_waitcnt lgkmcnt(0)
	s_barrier
	buffer_gl0_inv
	s_and_saveexec_b32 s9, s2
	s_cbranch_execz .LBB0_19
; %bb.18:                               ;   in Loop: Header=BB0_9 Depth=1
	ds_load_b128 v[2:5], v20 offset:2048
	ds_load_b128 v[6:9], v20
	ds_load_b128 v[21:24], v20 offset:16
	ds_load_b128 v[25:28], v20 offset:2064
	s_waitcnt lgkmcnt(2)
	v_add_co_u32 v2, vcc_lo, v6, v2
	v_add_co_ci_u32_e32 v3, vcc_lo, v7, v3, vcc_lo
	v_add_co_u32 v4, vcc_lo, v8, v4
	v_add_co_ci_u32_e32 v5, vcc_lo, v9, v5, vcc_lo
	s_waitcnt lgkmcnt(0)
	v_add_co_u32 v6, vcc_lo, v21, v25
	v_add_co_ci_u32_e32 v7, vcc_lo, v22, v26, vcc_lo
	v_add_co_u32 v8, vcc_lo, v23, v27
	v_add_co_ci_u32_e32 v9, vcc_lo, v24, v28, vcc_lo
	ds_store_b128 v20, v[2:5]
	ds_store_b128 v20, v[6:9] offset:16
.LBB0_19:                               ;   in Loop: Header=BB0_9 Depth=1
	s_or_b32 exec_lo, exec_lo, s9
	;; [unrolled: 24-line block ×7, first 2 shown]
	s_waitcnt lgkmcnt(0)
	s_barrier
	buffer_gl0_inv
	s_and_saveexec_b32 s9, s4
	s_cbranch_execz .LBB0_31
; %bb.30:                               ;   in Loop: Header=BB0_9 Depth=1
	ds_load_b128 v[2:5], v20
	ds_load_b128 v[6:9], v1 offset:32
	ds_load_b128 v[21:24], v1 offset:48
	;; [unrolled: 1-line block ×3, first 2 shown]
	s_waitcnt lgkmcnt(2)
	v_add_co_u32 v2, vcc_lo, v2, v6
	v_add_co_ci_u32_e32 v3, vcc_lo, v3, v7, vcc_lo
	v_add_co_u32 v4, vcc_lo, v4, v8
	v_add_co_ci_u32_e32 v5, vcc_lo, v5, v9, vcc_lo
	s_waitcnt lgkmcnt(0)
	v_add_co_u32 v6, vcc_lo, v25, v21
	v_add_co_ci_u32_e32 v7, vcc_lo, v26, v22, vcc_lo
	v_add_co_u32 v8, vcc_lo, v27, v23
	v_add_co_ci_u32_e32 v9, vcc_lo, v28, v24, vcc_lo
	ds_store_b128 v20, v[2:5]
	ds_store_b128 v20, v[6:9] offset:16
.LBB0_31:                               ;   in Loop: Header=BB0_9 Depth=1
	s_or_b32 exec_lo, exec_lo, s9
	s_waitcnt lgkmcnt(0)
	s_barrier
	buffer_gl0_inv
	ds_load_b128 v[2:5], v1
	ds_load_b128 v[6:9], v1 offset:16
	s_waitcnt lgkmcnt(0)
	s_barrier
	buffer_gl0_inv
	v_cmp_le_u64_e64 s9, v[12:13], v[2:3]
	s_delay_alu instid0(VALU_DEP_1)
	s_and_b32 vcc_lo, exec_lo, s9
	s_cbranch_vccnz .LBB0_35
; %bb.32:                               ;   in Loop: Header=BB0_9 Depth=1
	v_sub_co_u32 v12, vcc_lo, v12, v2
	v_sub_co_ci_u32_e32 v13, vcc_lo, v13, v3, vcc_lo
	s_delay_alu instid0(VALU_DEP_1)
	v_cmp_gt_u64_e32 vcc_lo, v[12:13], v[4:5]
	v_cmp_le_u64_e64 s9, v[12:13], v[4:5]
	s_cbranch_vccz .LBB0_36
; %bb.33:                               ;   in Loop: Header=BB0_9 Depth=1
	v_sub_co_u32 v12, vcc_lo, v12, v4
	v_sub_co_ci_u32_e32 v13, vcc_lo, v13, v5, vcc_lo
	s_delay_alu instid0(VALU_DEP_1)
	v_cmp_gt_u64_e32 vcc_lo, v[12:13], v[6:7]
	v_cmp_le_u64_e64 s9, v[12:13], v[6:7]
	s_cbranch_vccz .LBB0_37
; %bb.34:                               ;   in Loop: Header=BB0_9 Depth=1
	v_sub_co_u32 v14, vcc_lo, v12, v6
	v_sub_co_ci_u32_e32 v15, vcc_lo, v13, v7, vcc_lo
	v_dual_mov_b32 v17, v9 :: v_dual_mov_b32 v16, v8
	s_delay_alu instid0(VALU_DEP_2)
	v_dual_mov_b32 v12, v14 :: v_dual_mov_b32 v13, v15
	v_cmp_le_u64_e64 s9, v[14:15], v[8:9]
	s_mov_b32 s60, -1
	s_mov_b64 s[10:11], 3
	v_dual_mov_b32 v4, v8 :: v_dual_mov_b32 v5, v9
	s_branch .LBB0_38
.LBB0_35:                               ;   in Loop: Header=BB0_9 Depth=1
	s_mov_b32 s60, 0
	s_mov_b64 s[10:11], 0
	s_and_b32 vcc_lo, exec_lo, s9
                                        ; implicit-def: $sgpr9
                                        ; implicit-def: $sgpr62
                                        ; implicit-def: $sgpr61
	s_cbranch_vccz .LBB0_49
	s_branch .LBB0_39
.LBB0_36:                               ;   in Loop: Header=BB0_9 Depth=1
	s_mov_b32 s60, 0
	s_mov_b64 s[10:11], 1
	s_branch .LBB0_38
.LBB0_37:                               ;   in Loop: Header=BB0_9 Depth=1
	s_mov_b32 s60, 0
	s_mov_b64 s[10:11], 2
	v_dual_mov_b32 v4, v6 :: v_dual_mov_b32 v5, v7
.LBB0_38:                               ;   in Loop: Header=BB0_9 Depth=1
	s_delay_alu instid0(VALU_DEP_1)
	v_dual_mov_b32 v2, v4 :: v_dual_mov_b32 v3, v5
	s_and_b32 vcc_lo, exec_lo, s9
                                        ; implicit-def: $sgpr9
                                        ; implicit-def: $sgpr62
                                        ; implicit-def: $sgpr61
	s_cbranch_vccz .LBB0_49
.LBB0_39:                               ;   in Loop: Header=BB0_9 Depth=1
	s_delay_alu instid0(VALU_DEP_1) | instskip(SKIP_2) | instid1(SALU_CYCLE_1)
	v_cmp_ne_u64_e32 vcc_lo, 1, v[2:3]
	s_cmp_lg_u32 s37, 0
	s_cselect_b32 s9, -1, 0
	s_and_b32 s9, s9, vcc_lo
	s_delay_alu instid0(SALU_CYCLE_1)
	s_and_b32 vcc_lo, exec_lo, s9
	s_cbranch_vccz .LBB0_41
; %bb.40:                               ;   in Loop: Header=BB0_9 Depth=1
	s_lshl_b32 s9, s10, s37
	s_lshl_b32 s60, 3, s37
	s_or_b32 s61, s9, s43
	s_or_b32 s9, s60, s42
	s_mov_b32 s62, 0
	s_cbranch_execz .LBB0_42
	s_branch .LBB0_48
.LBB0_41:                               ;   in Loop: Header=BB0_9 Depth=1
	s_mov_b32 s62, -1
                                        ; implicit-def: $sgpr9
                                        ; implicit-def: $sgpr61
.LBB0_42:                               ;   in Loop: Header=BB0_9 Depth=1
	s_and_saveexec_b32 s60, s0
	s_cbranch_execz .LBB0_47
; %bb.43:                               ;   in Loop: Header=BB0_9 Depth=1
	v_dual_mov_b32 v2, v10 :: v_dual_mov_b32 v3, v11
	s_mov_b32 s61, 0
	s_set_inst_prefetch_distance 0x1
	s_branch .LBB0_45
	.p2align	6
.LBB0_44:                               ;   in Loop: Header=BB0_45 Depth=2
	s_or_b32 exec_lo, exec_lo, s9
	v_add_co_u32 v2, vcc_lo, 0x100, v2
	v_add_co_ci_u32_e32 v3, vcc_lo, 0, v3, vcc_lo
	s_delay_alu instid0(VALU_DEP_1) | instskip(SKIP_1) | instid1(SALU_CYCLE_1)
	v_cmp_le_u64_e32 vcc_lo, s[28:29], v[2:3]
	s_or_b32 s61, vcc_lo, s61
	s_and_not1_b32 exec_lo, exec_lo, s61
	s_cbranch_execz .LBB0_47
.LBB0_45:                               ;   Parent Loop BB0_9 Depth=1
                                        ; =>  This Inner Loop Header: Depth=2
	s_delay_alu instid0(VALU_DEP_1) | instskip(SKIP_2) | instid1(VALU_DEP_1)
	v_mul_lo_u32 v0, v3, s30
	v_mul_lo_u32 v6, v2, s31
	v_mad_u64_u32 v[4:5], null, v2, s30, 0
	v_add3_u32 v5, v5, v6, v0
	s_delay_alu instid0(VALU_DEP_1) | instskip(NEXT) | instid1(VALU_DEP_1)
	v_lshlrev_b64 v[4:5], 2, v[4:5]
	v_add_co_u32 v4, vcc_lo, s33, v4
	s_delay_alu instid0(VALU_DEP_2)
	v_add_co_ci_u32_e32 v5, vcc_lo, s36, v5, vcc_lo
	global_load_b32 v4, v[4:5], off
	s_waitcnt vmcnt(0)
	v_cmp_lt_i32_e32 vcc_lo, -1, v4
	v_cndmask_b32_e64 v0, -1, 0x80000000, vcc_lo
	v_cmp_o_f32_e32 vcc_lo, v4, v4
	s_delay_alu instid0(VALU_DEP_2) | instskip(NEXT) | instid1(VALU_DEP_1)
	v_xor_b32_e32 v0, v0, v4
	v_cndmask_b32_e32 v5, -1, v0, vcc_lo
	s_delay_alu instid0(VALU_DEP_1) | instskip(SKIP_1) | instid1(VALU_DEP_2)
	v_bfe_u32 v0, v5, s37, 2
	v_and_b32_e32 v5, s42, v5
	v_cmp_eq_u64_e32 vcc_lo, s[10:11], v[0:1]
	s_delay_alu instid0(VALU_DEP_2) | instskip(NEXT) | instid1(VALU_DEP_1)
	v_cmp_eq_u32_e64 s9, s43, v5
	s_and_b32 s62, s9, vcc_lo
	s_delay_alu instid0(SALU_CYCLE_1)
	s_and_saveexec_b32 s9, s62
	s_cbranch_execz .LBB0_44
; %bb.46:                               ;   in Loop: Header=BB0_45 Depth=2
	ds_store_b32 v1, v4 offset:8200
	ds_store_b64 v1, v[2:3] offset:8192
	s_branch .LBB0_44
.LBB0_47:                               ;   in Loop: Header=BB0_9 Depth=1
	s_set_inst_prefetch_distance 0x2
	s_or_b32 exec_lo, exec_lo, s60
	s_mov_b32 s62, -1
	s_mov_b32 s9, s42
	s_mov_b32 s61, s43
.LBB0_48:                               ;   in Loop: Header=BB0_9 Depth=1
	s_mov_b32 s60, 0
.LBB0_49:                               ;   in Loop: Header=BB0_9 Depth=1
	s_delay_alu instid0(SALU_CYCLE_1)
	s_and_not1_b32 vcc_lo, exec_lo, s60
	s_cbranch_vccnz .LBB0_8
; %bb.50:                               ;   in Loop: Header=BB0_9 Depth=1
	v_sub_co_u32 v12, vcc_lo, v14, v16
	v_sub_co_ci_u32_e32 v13, vcc_lo, v15, v17, vcc_lo
	s_mov_b32 s62, 0
	s_mov_b32 s61, s43
	;; [unrolled: 1-line block ×3, first 2 shown]
	s_branch .LBB0_8
.LBB0_51:
	s_waitcnt lgkmcnt(0)
	s_barrier
	buffer_gl0_inv
	s_and_saveexec_b32 s0, s4
	s_cbranch_execz .LBB0_69
; %bb.52:
	v_cmp_lt_u64_e64 s0, s[68:69], s[18:19]
	s_mov_b64 s[2:3], 0
	s_delay_alu instid0(VALU_DEP_1)
	s_and_b32 vcc_lo, exec_lo, s0
	s_mov_b64 s[0:1], 0
	s_cbranch_vccnz .LBB0_54
; %bb.53:
	v_cvt_f32_u32_e32 v0, s18
	s_sub_i32 s1, 0, s18
	s_delay_alu instid0(VALU_DEP_1) | instskip(SKIP_2) | instid1(VALU_DEP_1)
	v_rcp_iflag_f32_e32 v0, v0
	s_waitcnt_depctr 0xfff
	v_mul_f32_e32 v0, 0x4f7ffffe, v0
	v_cvt_u32_f32_e32 v0, v0
	s_delay_alu instid0(VALU_DEP_1) | instskip(NEXT) | instid1(VALU_DEP_1)
	v_readfirstlane_b32 s0, v0
	s_mul_i32 s1, s1, s0
	s_delay_alu instid0(SALU_CYCLE_1) | instskip(NEXT) | instid1(SALU_CYCLE_1)
	s_mul_hi_u32 s1, s0, s1
	s_add_i32 s0, s0, s1
	s_delay_alu instid0(SALU_CYCLE_1) | instskip(NEXT) | instid1(SALU_CYCLE_1)
	s_mul_hi_u32 s0, s68, s0
	s_mul_i32 s1, s0, s18
	s_add_i32 s4, s0, 1
	s_sub_i32 s1, s68, s1
	s_delay_alu instid0(SALU_CYCLE_1)
	s_sub_i32 s5, s1, s18
	s_cmp_ge_u32 s1, s18
	s_cselect_b32 s0, s4, s0
	s_cselect_b32 s1, s5, s1
	s_add_i32 s4, s0, 1
	s_cmp_ge_u32 s1, s18
	s_mov_b32 s1, 0
	s_cselect_b32 s0, s4, s0
.LBB0_54:
	s_delay_alu instid0(SALU_CYCLE_1) | instskip(NEXT) | instid1(VALU_DEP_1)
	v_cmp_lt_u64_e64 s4, s[0:1], s[16:17]
	s_and_b32 vcc_lo, exec_lo, s4
	s_cbranch_vccnz .LBB0_56
; %bb.55:
	v_cvt_f32_u32_e32 v0, s16
	s_sub_i32 s3, 0, s16
	s_delay_alu instid0(VALU_DEP_1) | instskip(SKIP_2) | instid1(VALU_DEP_1)
	v_rcp_iflag_f32_e32 v0, v0
	s_waitcnt_depctr 0xfff
	v_mul_f32_e32 v0, 0x4f7ffffe, v0
	v_cvt_u32_f32_e32 v0, v0
	s_delay_alu instid0(VALU_DEP_1) | instskip(NEXT) | instid1(VALU_DEP_1)
	v_readfirstlane_b32 s2, v0
	s_mul_i32 s3, s3, s2
	s_delay_alu instid0(SALU_CYCLE_1) | instskip(NEXT) | instid1(SALU_CYCLE_1)
	s_mul_hi_u32 s3, s2, s3
	s_add_i32 s2, s2, s3
	s_delay_alu instid0(SALU_CYCLE_1) | instskip(NEXT) | instid1(SALU_CYCLE_1)
	s_mul_hi_u32 s2, s0, s2
	s_mul_i32 s3, s2, s16
	s_add_i32 s4, s2, 1
	s_sub_i32 s3, s0, s3
	s_delay_alu instid0(SALU_CYCLE_1)
	s_sub_i32 s5, s3, s16
	s_cmp_ge_u32 s3, s16
	s_cselect_b32 s2, s4, s2
	s_cselect_b32 s3, s5, s3
	s_add_i32 s4, s2, 1
	s_cmp_ge_u32 s3, s16
	s_mov_b32 s3, 0
	s_cselect_b32 s2, s4, s2
.LBB0_56:
	s_delay_alu instid0(SALU_CYCLE_1) | instskip(SKIP_1) | instid1(VALU_DEP_1)
	v_cmp_lt_u64_e64 s6, s[2:3], s[14:15]
	s_mov_b64 s[4:5], 0
	s_and_b32 vcc_lo, exec_lo, s6
	s_mov_b64 s[6:7], 0
	s_cbranch_vccnz .LBB0_58
; %bb.57:
	v_cvt_f32_u32_e32 v0, s14
	s_sub_i32 s6, 0, s14
	s_delay_alu instid0(VALU_DEP_1) | instskip(SKIP_2) | instid1(VALU_DEP_1)
	v_rcp_iflag_f32_e32 v0, v0
	s_waitcnt_depctr 0xfff
	v_mul_f32_e32 v0, 0x4f7ffffe, v0
	v_cvt_u32_f32_e32 v0, v0
	s_delay_alu instid0(VALU_DEP_1) | instskip(NEXT) | instid1(VALU_DEP_1)
	v_readfirstlane_b32 s5, v0
	s_mul_i32 s6, s6, s5
	s_delay_alu instid0(SALU_CYCLE_1) | instskip(NEXT) | instid1(SALU_CYCLE_1)
	s_mul_hi_u32 s6, s5, s6
	s_add_i32 s5, s5, s6
	s_delay_alu instid0(SALU_CYCLE_1) | instskip(NEXT) | instid1(SALU_CYCLE_1)
	s_mul_hi_u32 s5, s2, s5
	s_mul_i32 s6, s5, s14
	s_add_i32 s7, s5, 1
	s_sub_i32 s6, s2, s6
	s_delay_alu instid0(SALU_CYCLE_1)
	s_sub_i32 s8, s6, s14
	s_cmp_ge_u32 s6, s14
	s_cselect_b32 s5, s7, s5
	s_cselect_b32 s6, s8, s6
	s_add_i32 s8, s5, 1
	s_cmp_ge_u32 s6, s14
	s_mov_b32 s7, 0
	s_cselect_b32 s6, s8, s5
.LBB0_58:
	s_delay_alu instid0(SALU_CYCLE_1) | instskip(NEXT) | instid1(VALU_DEP_1)
	v_cmp_lt_u64_e64 s5, s[6:7], s[12:13]
	s_and_b32 vcc_lo, exec_lo, s5
	s_cbranch_vccnz .LBB0_60
; %bb.59:
	v_cvt_f32_u32_e32 v0, s12
	s_sub_i32 s5, 0, s12
	s_delay_alu instid0(VALU_DEP_1) | instskip(SKIP_2) | instid1(VALU_DEP_1)
	v_rcp_iflag_f32_e32 v0, v0
	s_waitcnt_depctr 0xfff
	v_mul_f32_e32 v0, 0x4f7ffffe, v0
	v_cvt_u32_f32_e32 v0, v0
	s_delay_alu instid0(VALU_DEP_1) | instskip(NEXT) | instid1(VALU_DEP_1)
	v_readfirstlane_b32 s4, v0
	s_mul_i32 s5, s5, s4
	s_delay_alu instid0(SALU_CYCLE_1) | instskip(NEXT) | instid1(SALU_CYCLE_1)
	s_mul_hi_u32 s5, s4, s5
	s_add_i32 s4, s4, s5
	s_delay_alu instid0(SALU_CYCLE_1) | instskip(NEXT) | instid1(SALU_CYCLE_1)
	s_mul_hi_u32 s4, s6, s4
	s_mul_i32 s5, s4, s12
	s_add_i32 s8, s4, 1
	s_sub_i32 s5, s6, s5
	s_delay_alu instid0(SALU_CYCLE_1)
	s_sub_i32 s9, s5, s12
	s_cmp_ge_u32 s5, s12
	s_cselect_b32 s4, s8, s4
	s_cselect_b32 s5, s9, s5
	s_add_i32 s8, s4, 1
	s_cmp_ge_u32 s5, s12
	s_cselect_b32 s4, s8, s4
.LBB0_60:
	v_cmp_lt_u64_e64 s5, s[68:69], s[58:59]
	s_mov_b64 s[28:29], 0
	s_mov_b64 s[10:11], 0
	s_delay_alu instid0(VALU_DEP_1)
	s_and_b32 vcc_lo, exec_lo, s5
	s_cbranch_vccnz .LBB0_62
; %bb.61:
	v_cvt_f32_u32_e32 v0, s58
	s_sub_i32 s8, 0, s58
	s_mov_b32 s11, 0
	s_delay_alu instid0(VALU_DEP_1) | instskip(SKIP_2) | instid1(VALU_DEP_1)
	v_rcp_iflag_f32_e32 v0, v0
	s_waitcnt_depctr 0xfff
	v_mul_f32_e32 v0, 0x4f7ffffe, v0
	v_cvt_u32_f32_e32 v0, v0
	s_delay_alu instid0(VALU_DEP_1) | instskip(NEXT) | instid1(VALU_DEP_1)
	v_readfirstlane_b32 s5, v0
	s_mul_i32 s8, s8, s5
	s_delay_alu instid0(SALU_CYCLE_1) | instskip(NEXT) | instid1(SALU_CYCLE_1)
	s_mul_hi_u32 s8, s5, s8
	s_add_i32 s5, s5, s8
	s_delay_alu instid0(SALU_CYCLE_1) | instskip(NEXT) | instid1(SALU_CYCLE_1)
	s_mul_hi_u32 s5, s68, s5
	s_mul_i32 s8, s5, s58
	s_add_i32 s9, s5, 1
	s_sub_i32 s8, s68, s8
	s_delay_alu instid0(SALU_CYCLE_1)
	s_sub_i32 s10, s8, s58
	s_cmp_ge_u32 s8, s58
	s_cselect_b32 s5, s9, s5
	s_cselect_b32 s8, s10, s8
	s_add_i32 s9, s5, 1
	s_cmp_ge_u32 s8, s58
	s_cselect_b32 s10, s9, s5
.LBB0_62:
	s_delay_alu instid0(SALU_CYCLE_1) | instskip(NEXT) | instid1(VALU_DEP_1)
	v_cmp_lt_u64_e64 s5, s[10:11], s[56:57]
	s_and_b32 vcc_lo, exec_lo, s5
	s_cbranch_vccnz .LBB0_64
; %bb.63:
	v_cvt_f32_u32_e32 v0, s56
	s_sub_i32 s8, 0, s56
	s_mov_b32 s29, 0
	s_delay_alu instid0(VALU_DEP_1) | instskip(SKIP_2) | instid1(VALU_DEP_1)
	v_rcp_iflag_f32_e32 v0, v0
	s_waitcnt_depctr 0xfff
	v_mul_f32_e32 v0, 0x4f7ffffe, v0
	v_cvt_u32_f32_e32 v0, v0
	s_delay_alu instid0(VALU_DEP_1) | instskip(NEXT) | instid1(VALU_DEP_1)
	v_readfirstlane_b32 s5, v0
	s_mul_i32 s8, s8, s5
	s_delay_alu instid0(SALU_CYCLE_1) | instskip(NEXT) | instid1(SALU_CYCLE_1)
	s_mul_hi_u32 s8, s5, s8
	s_add_i32 s5, s5, s8
	s_delay_alu instid0(SALU_CYCLE_1) | instskip(NEXT) | instid1(SALU_CYCLE_1)
	s_mul_hi_u32 s5, s10, s5
	s_mul_i32 s8, s5, s56
	s_add_i32 s9, s5, 1
	s_sub_i32 s8, s10, s8
	s_delay_alu instid0(SALU_CYCLE_1)
	s_sub_i32 s28, s8, s56
	s_cmp_ge_u32 s8, s56
	s_cselect_b32 s5, s9, s5
	s_cselect_b32 s8, s28, s8
	s_add_i32 s9, s5, 1
	s_cmp_ge_u32 s8, s56
	s_cselect_b32 s28, s9, s5
.LBB0_64:
	s_delay_alu instid0(SALU_CYCLE_1) | instskip(SKIP_2) | instid1(VALU_DEP_1)
	v_cmp_lt_u64_e64 s5, s[28:29], s[54:55]
	s_mov_b64 s[8:9], 0
	s_mov_b64 s[30:31], 0
	s_and_b32 vcc_lo, exec_lo, s5
	s_cbranch_vccnz .LBB0_66
; %bb.65:
	v_cvt_f32_u32_e32 v0, s54
	s_sub_i32 s9, 0, s54
	s_delay_alu instid0(VALU_DEP_1) | instskip(SKIP_2) | instid1(VALU_DEP_1)
	v_rcp_iflag_f32_e32 v0, v0
	s_waitcnt_depctr 0xfff
	v_mul_f32_e32 v0, 0x4f7ffffe, v0
	v_cvt_u32_f32_e32 v0, v0
	s_delay_alu instid0(VALU_DEP_1) | instskip(NEXT) | instid1(VALU_DEP_1)
	v_readfirstlane_b32 s5, v0
	s_mul_i32 s9, s9, s5
	s_delay_alu instid0(SALU_CYCLE_1) | instskip(NEXT) | instid1(SALU_CYCLE_1)
	s_mul_hi_u32 s9, s5, s9
	s_add_i32 s5, s5, s9
	s_delay_alu instid0(SALU_CYCLE_1) | instskip(NEXT) | instid1(SALU_CYCLE_1)
	s_mul_hi_u32 s5, s28, s5
	s_mul_i32 s9, s5, s54
	s_add_i32 s30, s5, 1
	s_sub_i32 s9, s28, s9
	s_delay_alu instid0(SALU_CYCLE_1)
	s_sub_i32 s31, s9, s54
	s_cmp_ge_u32 s9, s54
	s_cselect_b32 s5, s30, s5
	s_cselect_b32 s9, s31, s9
	s_add_i32 s30, s5, 1
	s_cmp_ge_u32 s9, s54
	s_mov_b32 s31, 0
	s_cselect_b32 s30, s30, s5
.LBB0_66:
	s_delay_alu instid0(SALU_CYCLE_1) | instskip(NEXT) | instid1(VALU_DEP_1)
	v_cmp_lt_u64_e64 s5, s[30:31], s[52:53]
	s_and_b32 vcc_lo, exec_lo, s5
	s_cbranch_vccnz .LBB0_68
; %bb.67:
	v_cvt_f32_u32_e32 v0, s52
	s_sub_i32 s8, 0, s52
	s_delay_alu instid0(VALU_DEP_1) | instskip(SKIP_2) | instid1(VALU_DEP_1)
	v_rcp_iflag_f32_e32 v0, v0
	s_waitcnt_depctr 0xfff
	v_mul_f32_e32 v0, 0x4f7ffffe, v0
	v_cvt_u32_f32_e32 v0, v0
	s_delay_alu instid0(VALU_DEP_1) | instskip(NEXT) | instid1(VALU_DEP_1)
	v_readfirstlane_b32 s5, v0
	s_mul_i32 s8, s8, s5
	s_delay_alu instid0(SALU_CYCLE_1) | instskip(NEXT) | instid1(SALU_CYCLE_1)
	s_mul_hi_u32 s8, s5, s8
	s_add_i32 s5, s5, s8
	s_delay_alu instid0(SALU_CYCLE_1) | instskip(NEXT) | instid1(SALU_CYCLE_1)
	s_mul_hi_u32 s5, s30, s5
	s_mul_i32 s8, s5, s52
	s_add_i32 s9, s5, 1
	s_sub_i32 s8, s30, s8
	s_delay_alu instid0(SALU_CYCLE_1)
	s_sub_i32 s33, s8, s52
	s_cmp_ge_u32 s8, s52
	s_cselect_b32 s5, s9, s5
	s_cselect_b32 s8, s33, s8
	s_add_i32 s9, s5, 1
	s_cmp_ge_u32 s8, s52
	s_cselect_b32 s8, s9, s5
.LBB0_68:
	s_mul_i32 s5, s30, s55
	s_mul_hi_u32 s9, s30, s54
	s_mul_i32 s33, s30, s54
	s_add_i32 s9, s9, s5
	s_sub_u32 s33, s28, s33
	s_subb_u32 s5, s29, s9
	s_mul_i32 s9, s28, s57
	s_mul_hi_u32 s29, s28, s56
	s_mul_i32 s28, s28, s56
	s_add_i32 s29, s29, s9
	s_sub_u32 s9, s10, s28
	s_subb_u32 s28, s11, s29
	s_mul_i32 s11, s10, s59
	s_mul_hi_u32 s29, s10, s58
	s_mul_i32 s10, s10, s58
	s_add_i32 s29, s29, s11
	s_sub_u32 s36, s68, s10
	s_mul_i32 s10, s4, s13
	s_mul_hi_u32 s11, s4, s12
	s_mul_i32 s12, s4, s12
	s_subb_u32 s29, 0, s29
	s_add_i32 s11, s11, s10
	s_sub_u32 s37, s6, s12
	s_subb_u32 s7, s7, s11
	s_mul_i32 s10, s6, s15
	s_mul_hi_u32 s11, s6, s14
	s_mul_i32 s6, s6, s14
	s_add_i32 s11, s11, s10
	s_sub_u32 s6, s2, s6
	s_subb_u32 s3, s3, s11
	s_mul_i32 s10, s2, s17
	s_mul_hi_u32 s11, s2, s16
	s_mul_i32 s2, s2, s16
	s_add_i32 s11, s11, s10
	s_sub_u32 s2, s0, s2
	s_subb_u32 s10, s1, s11
	s_mul_i32 s1, s0, s19
	s_mul_hi_u32 s11, s0, s18
	s_mul_i32 s0, s0, s18
	s_add_i32 s11, s11, s1
	s_mul_i32 s1, s8, s53
	s_mul_hi_u32 s12, s8, s52
	s_sub_u32 s0, s68, s0
	s_mul_i32 s13, s8, s52
	s_subb_u32 s11, 0, s11
	s_add_i32 s12, s12, s1
	s_sub_u32 s14, s30, s13
	s_subb_u32 s15, s31, s12
	s_mul_i32 s1, s4, s45
	s_mul_hi_u32 s12, s4, s44
	s_mul_i32 s13, s37, s47
	s_mul_hi_u32 s16, s37, s46
	s_add_i32 s1, s12, s1
	s_add_i32 s12, s16, s13
	s_mul_i32 s13, s6, s49
	s_mul_hi_u32 s16, s6, s48
	s_mul_i32 s7, s7, s46
	s_add_i32 s13, s16, s13
	s_mul_i32 s16, s3, s48
	s_add_i32 s3, s12, s7
	s_add_i32 s7, s13, s16
	s_mul_i32 s12, s2, s51
	s_mul_hi_u32 s13, s2, s50
	s_mul_i32 s16, s0, s71
	s_mul_hi_u32 s17, s0, s70
	s_add_i32 s12, s13, s12
	s_add_i32 s13, s17, s16
	s_mul_i32 s11, s11, s70
	s_mul_i32 s16, s10, s50
	s_add_i32 s11, s13, s11
	s_mul_i32 s10, s0, s70
	s_add_i32 s13, s12, s16
	s_lshl_b64 s[10:11], s[10:11], 2
	s_mul_i32 s12, s2, s50
	s_add_u32 s0, s38, s10
	s_addc_u32 s2, s39, s11
	s_lshl_b64 s[10:11], s[12:13], 2
	s_mul_i32 s6, s6, s48
	s_add_u32 s0, s0, s10
	s_addc_u32 s10, s2, s11
	;; [unrolled: 4-line block ×5, first 2 shown]
	s_mul_i32 s2, s8, s21
	s_mul_hi_u32 s3, s8, s20
	s_mul_hi_u32 s6, s14, s22
	s_add_i32 s3, s3, s2
	s_add_i32 s2, s6, s4
	s_mul_i32 s4, s33, s25
	s_mul_hi_u32 s6, s33, s24
	v_mov_b32_e32 v2, 0
	s_mul_i32 s15, s15, s22
	s_add_i32 s4, s6, s4
	s_mul_i32 s6, s5, s24
	s_add_i32 s5, s2, s15
	s_add_i32 s7, s4, s6
	s_mul_i32 s2, s9, s27
	s_mul_hi_u32 s4, s9, s26
	s_mul_i32 s6, s36, s35
	s_mul_hi_u32 s10, s36, s34
	ds_load_b64 v[0:1], v2 offset:8192
	ds_load_b32 v3, v2 offset:8200
	s_add_i32 s2, s4, s2
	s_add_i32 s4, s10, s6
	s_mul_i32 s29, s29, s34
	s_mul_i32 s10, s36, s34
	s_add_i32 s11, s4, s29
	s_mul_i32 s28, s28, s26
	s_lshl_b64 s[10:11], s[10:11], 3
	s_add_i32 s13, s2, s28
	s_mul_i32 s12, s9, s26
	s_add_u32 s2, s40, s10
	s_addc_u32 s4, s41, s11
	s_lshl_b64 s[10:11], s[12:13], 3
	s_mul_i32 s6, s33, s24
	s_add_u32 s2, s2, s10
	s_addc_u32 s9, s4, s11
	s_lshl_b64 s[6:7], s[6:7], 3
	;; [unrolled: 4-line block ×4, first 2 shown]
	s_delay_alu instid0(SALU_CYCLE_1)
	s_add_u32 s2, s4, s2
	s_addc_u32 s3, s5, s3
	s_waitcnt lgkmcnt(0)
	s_clause 0x1
	global_store_b32 v2, v3, s[0:1]
	global_store_b64 v2, v[0:1], s[2:3]
.LBB0_69:
	s_nop 0
	s_sendmsg sendmsg(MSG_DEALLOC_VGPRS)
	s_endpgm
	.section	.rodata,"a",@progbits
	.p2align	6, 0x0
	.amdhsa_kernel KthvalueFwd
		.amdhsa_group_segment_fixed_size 8208
		.amdhsa_private_segment_fixed_size 0
		.amdhsa_kernarg_size 280
		.amdhsa_user_sgpr_count 15
		.amdhsa_user_sgpr_dispatch_ptr 0
		.amdhsa_user_sgpr_queue_ptr 0
		.amdhsa_user_sgpr_kernarg_segment_ptr 1
		.amdhsa_user_sgpr_dispatch_id 0
		.amdhsa_user_sgpr_private_segment_size 0
		.amdhsa_wavefront_size32 1
		.amdhsa_uses_dynamic_stack 0
		.amdhsa_enable_private_segment 0
		.amdhsa_system_sgpr_workgroup_id_x 1
		.amdhsa_system_sgpr_workgroup_id_y 0
		.amdhsa_system_sgpr_workgroup_id_z 0
		.amdhsa_system_sgpr_workgroup_info 0
		.amdhsa_system_vgpr_workitem_id 0
		.amdhsa_next_free_vgpr 29
		.amdhsa_next_free_sgpr 74
		.amdhsa_reserve_vcc 1
		.amdhsa_float_round_mode_32 0
		.amdhsa_float_round_mode_16_64 0
		.amdhsa_float_denorm_mode_32 3
		.amdhsa_float_denorm_mode_16_64 3
		.amdhsa_dx10_clamp 1
		.amdhsa_ieee_mode 1
		.amdhsa_fp16_overflow 0
		.amdhsa_workgroup_processor_mode 1
		.amdhsa_memory_ordered 1
		.amdhsa_forward_progress 0
		.amdhsa_shared_vgpr_count 0
		.amdhsa_exception_fp_ieee_invalid_op 0
		.amdhsa_exception_fp_denorm_src 0
		.amdhsa_exception_fp_ieee_div_zero 0
		.amdhsa_exception_fp_ieee_overflow 0
		.amdhsa_exception_fp_ieee_underflow 0
		.amdhsa_exception_fp_ieee_inexact 0
		.amdhsa_exception_int_div_zero 0
	.end_amdhsa_kernel
	.text
.Lfunc_end0:
	.size	KthvalueFwd, .Lfunc_end0-KthvalueFwd
                                        ; -- End function
	.section	.AMDGPU.csdata,"",@progbits
; Kernel info:
; codeLenInByte = 4784
; NumSgprs: 76
; NumVgprs: 29
; ScratchSize: 0
; MemoryBound: 0
; FloatMode: 240
; IeeeMode: 1
; LDSByteSize: 8208 bytes/workgroup (compile time only)
; SGPRBlocks: 9
; VGPRBlocks: 3
; NumSGPRsForWavesPerEU: 76
; NumVGPRsForWavesPerEU: 29
; Occupancy: 16
; WaveLimiterHint : 1
; COMPUTE_PGM_RSRC2:SCRATCH_EN: 0
; COMPUTE_PGM_RSRC2:USER_SGPR: 15
; COMPUTE_PGM_RSRC2:TRAP_HANDLER: 0
; COMPUTE_PGM_RSRC2:TGID_X_EN: 1
; COMPUTE_PGM_RSRC2:TGID_Y_EN: 0
; COMPUTE_PGM_RSRC2:TGID_Z_EN: 0
; COMPUTE_PGM_RSRC2:TIDIG_COMP_CNT: 0
	.text
	.p2alignl 7, 3214868480
	.fill 96, 4, 3214868480
	.type	__hip_cuid_bff018b4cb669324,@object ; @__hip_cuid_bff018b4cb669324
	.section	.bss,"aw",@nobits
	.globl	__hip_cuid_bff018b4cb669324
__hip_cuid_bff018b4cb669324:
	.byte	0                               ; 0x0
	.size	__hip_cuid_bff018b4cb669324, 1

	.ident	"AMD clang version 19.0.0git (https://github.com/RadeonOpenCompute/llvm-project roc-6.4.0 25133 c7fe45cf4b819c5991fe208aaa96edf142730f1d)"
	.section	".note.GNU-stack","",@progbits
	.addrsig
	.addrsig_sym __hip_cuid_bff018b4cb669324
	.amdgpu_metadata
---
amdhsa.kernels:
  - .args:
      - .address_space:  global
        .offset:         0
        .size:           8
        .value_kind:     global_buffer
      - .address_space:  global
        .offset:         8
        .size:           8
        .value_kind:     global_buffer
      - .address_space:  global
        .offset:         16
        .size:           8
        .value_kind:     global_buffer
      - .offset:         24
        .size:           8
        .value_kind:     by_value
      - .offset:         32
        .size:           8
        .value_kind:     by_value
      - .offset:         40
        .size:           8
        .value_kind:     by_value
      - .offset:         48
        .size:           8
        .value_kind:     by_value
      - .offset:         56
        .size:           64
        .value_kind:     by_value
      - .offset:         120
        .size:           80
        .value_kind:     by_value
      - .offset:         200
        .size:           80
        .value_kind:     by_value
    .group_segment_fixed_size: 8208
    .kernarg_segment_align: 8
    .kernarg_segment_size: 280
    .language:       OpenCL C
    .language_version:
      - 2
      - 0
    .max_flat_workgroup_size: 1024
    .name:           KthvalueFwd
    .private_segment_fixed_size: 0
    .sgpr_count:     76
    .sgpr_spill_count: 0
    .symbol:         KthvalueFwd.kd
    .uniform_work_group_size: 1
    .uses_dynamic_stack: false
    .vgpr_count:     29
    .vgpr_spill_count: 0
    .wavefront_size: 32
    .workgroup_processor_mode: 1
amdhsa.target:   amdgcn-amd-amdhsa--gfx1100
amdhsa.version:
  - 1
  - 2
...

	.end_amdgpu_metadata
